;; amdgpu-corpus repo=ROCm/rocFFT kind=compiled arch=gfx950 opt=O3
	.text
	.amdgcn_target "amdgcn-amd-amdhsa--gfx950"
	.amdhsa_code_object_version 6
	.protected	fft_rtc_back_len1078_factors_2_11_7_7_wgs_231_tpt_77_halfLds_half_ip_CI_unitstride_sbrr_dirReg ; -- Begin function fft_rtc_back_len1078_factors_2_11_7_7_wgs_231_tpt_77_halfLds_half_ip_CI_unitstride_sbrr_dirReg
	.globl	fft_rtc_back_len1078_factors_2_11_7_7_wgs_231_tpt_77_halfLds_half_ip_CI_unitstride_sbrr_dirReg
	.p2align	8
	.type	fft_rtc_back_len1078_factors_2_11_7_7_wgs_231_tpt_77_halfLds_half_ip_CI_unitstride_sbrr_dirReg,@function
fft_rtc_back_len1078_factors_2_11_7_7_wgs_231_tpt_77_halfLds_half_ip_CI_unitstride_sbrr_dirReg: ; @fft_rtc_back_len1078_factors_2_11_7_7_wgs_231_tpt_77_halfLds_half_ip_CI_unitstride_sbrr_dirReg
; %bb.0:
	s_load_dwordx2 s[8:9], s[0:1], 0x50
	s_load_dwordx4 s[4:7], s[0:1], 0x0
	s_load_dwordx2 s[10:11], s[0:1], 0x18
	v_mul_u32_u24_e32 v1, 0x354, v0
	v_lshrrev_b32_e32 v2, 16, v1
	v_mad_u64_u32 v[4:5], s[2:3], s2, 3, v[2:3]
	v_mov_b32_e32 v6, 0
	v_mov_b32_e32 v5, v6
	s_waitcnt lgkmcnt(0)
	v_cmp_lt_u64_e64 s[2:3], s[6:7], 2
	s_and_b64 vcc, exec, s[2:3]
	v_mov_b64_e32 v[2:3], 0
	v_mov_b64_e32 v[10:11], v[4:5]
	s_cbranch_vccnz .LBB0_8
; %bb.1:
	s_load_dwordx2 s[2:3], s[0:1], 0x10
	s_add_u32 s12, s10, 8
	s_addc_u32 s13, s11, 0
	s_mov_b64 s[14:15], 1
	v_mov_b64_e32 v[2:3], 0
	s_waitcnt lgkmcnt(0)
	s_add_u32 s16, s2, 8
	s_addc_u32 s17, s3, 0
	v_mov_b64_e32 v[8:9], v[4:5]
.LBB0_2:                                ; =>This Inner Loop Header: Depth=1
	s_load_dwordx2 s[18:19], s[16:17], 0x0
                                        ; implicit-def: $vgpr10_vgpr11
	s_waitcnt lgkmcnt(0)
	v_or_b32_e32 v7, s19, v9
	v_cmp_ne_u64_e32 vcc, 0, v[6:7]
	s_and_saveexec_b64 s[2:3], vcc
	s_xor_b64 s[20:21], exec, s[2:3]
	s_cbranch_execz .LBB0_4
; %bb.3:                                ;   in Loop: Header=BB0_2 Depth=1
	v_cvt_f32_u32_e32 v1, s18
	v_cvt_f32_u32_e32 v5, s19
	s_sub_u32 s2, 0, s18
	s_subb_u32 s3, 0, s19
	v_fmac_f32_e32 v1, 0x4f800000, v5
	v_rcp_f32_e32 v1, v1
	s_nop 0
	v_mul_f32_e32 v1, 0x5f7ffffc, v1
	v_mul_f32_e32 v5, 0x2f800000, v1
	v_trunc_f32_e32 v5, v5
	v_fmac_f32_e32 v1, 0xcf800000, v5
	v_cvt_u32_f32_e32 v5, v5
	v_cvt_u32_f32_e32 v1, v1
	v_mul_lo_u32 v7, s2, v5
	v_mul_hi_u32 v10, s2, v1
	v_mul_lo_u32 v11, s3, v1
	v_add_u32_e32 v7, v10, v7
	v_mul_lo_u32 v14, s2, v1
	v_add_u32_e32 v7, v7, v11
	v_mul_hi_u32 v10, v1, v14
	v_mul_hi_u32 v13, v1, v7
	v_mul_lo_u32 v12, v1, v7
	v_mov_b32_e32 v11, v6
	v_lshl_add_u64 v[10:11], v[10:11], 0, v[12:13]
	v_mul_hi_u32 v13, v5, v14
	v_mul_lo_u32 v14, v5, v14
	v_add_co_u32_e32 v10, vcc, v10, v14
	v_mul_hi_u32 v12, v5, v7
	s_nop 0
	v_addc_co_u32_e32 v10, vcc, v11, v13, vcc
	v_mov_b32_e32 v11, v6
	s_nop 0
	v_addc_co_u32_e32 v13, vcc, 0, v12, vcc
	v_mul_lo_u32 v12, v5, v7
	v_lshl_add_u64 v[10:11], v[10:11], 0, v[12:13]
	v_add_co_u32_e32 v1, vcc, v1, v10
	v_mul_hi_u32 v10, s2, v1
	s_nop 0
	v_addc_co_u32_e32 v5, vcc, v5, v11, vcc
	v_mul_lo_u32 v7, s2, v5
	v_add_u32_e32 v7, v10, v7
	v_mul_lo_u32 v10, s3, v1
	v_add_u32_e32 v7, v7, v10
	v_mul_lo_u32 v12, s2, v1
	v_mul_hi_u32 v15, v5, v12
	v_mul_lo_u32 v16, v5, v12
	v_mul_hi_u32 v11, v1, v7
	;; [unrolled: 2-line block ×3, first 2 shown]
	v_mov_b32_e32 v13, v6
	v_lshl_add_u64 v[10:11], v[12:13], 0, v[10:11]
	v_add_co_u32_e32 v10, vcc, v10, v16
	v_mul_hi_u32 v14, v5, v7
	s_nop 0
	v_addc_co_u32_e32 v10, vcc, v11, v15, vcc
	v_mul_lo_u32 v12, v5, v7
	s_nop 0
	v_addc_co_u32_e32 v13, vcc, 0, v14, vcc
	v_mov_b32_e32 v11, v6
	v_lshl_add_u64 v[10:11], v[10:11], 0, v[12:13]
	v_add_co_u32_e32 v1, vcc, v1, v10
	v_mul_hi_u32 v12, v8, v1
	s_nop 0
	v_addc_co_u32_e32 v5, vcc, v5, v11, vcc
	v_mad_u64_u32 v[10:11], s[2:3], v8, v5, 0
	v_mov_b32_e32 v13, v6
	v_lshl_add_u64 v[10:11], v[12:13], 0, v[10:11]
	v_mad_u64_u32 v[14:15], s[2:3], v9, v1, 0
	v_add_co_u32_e32 v1, vcc, v10, v14
	v_mad_u64_u32 v[12:13], s[2:3], v9, v5, 0
	s_nop 0
	v_addc_co_u32_e32 v10, vcc, v11, v15, vcc
	v_mov_b32_e32 v11, v6
	s_nop 0
	v_addc_co_u32_e32 v13, vcc, 0, v13, vcc
	v_lshl_add_u64 v[10:11], v[10:11], 0, v[12:13]
	v_mul_lo_u32 v1, s19, v10
	v_mul_lo_u32 v5, s18, v11
	v_mad_u64_u32 v[12:13], s[2:3], s18, v10, 0
	v_add3_u32 v1, v13, v5, v1
	v_sub_u32_e32 v5, v9, v1
	v_mov_b32_e32 v7, s19
	v_sub_co_u32_e32 v16, vcc, v8, v12
	v_lshl_add_u64 v[14:15], v[10:11], 0, 1
	s_nop 0
	v_subb_co_u32_e64 v5, s[2:3], v5, v7, vcc
	v_subrev_co_u32_e64 v7, s[2:3], s18, v16
	v_subb_co_u32_e32 v1, vcc, v9, v1, vcc
	s_nop 0
	v_subbrev_co_u32_e64 v5, s[2:3], 0, v5, s[2:3]
	v_cmp_le_u32_e64 s[2:3], s19, v5
	v_cmp_le_u32_e32 vcc, s19, v1
	s_nop 0
	v_cndmask_b32_e64 v12, 0, -1, s[2:3]
	v_cmp_le_u32_e64 s[2:3], s18, v7
	s_nop 1
	v_cndmask_b32_e64 v7, 0, -1, s[2:3]
	v_cmp_eq_u32_e64 s[2:3], s19, v5
	s_nop 1
	v_cndmask_b32_e64 v5, v12, v7, s[2:3]
	v_lshl_add_u64 v[12:13], v[10:11], 0, 2
	v_cmp_ne_u32_e64 s[2:3], 0, v5
	v_cndmask_b32_e64 v7, 0, -1, vcc
	v_cmp_le_u32_e32 vcc, s18, v16
	v_cndmask_b32_e64 v5, v15, v13, s[2:3]
	s_nop 0
	v_cndmask_b32_e64 v13, 0, -1, vcc
	v_cmp_eq_u32_e32 vcc, s19, v1
	s_nop 1
	v_cndmask_b32_e32 v1, v7, v13, vcc
	v_cmp_ne_u32_e32 vcc, 0, v1
	v_cndmask_b32_e64 v1, v14, v12, s[2:3]
	s_nop 0
	v_cndmask_b32_e32 v11, v11, v5, vcc
	v_cndmask_b32_e32 v10, v10, v1, vcc
.LBB0_4:                                ;   in Loop: Header=BB0_2 Depth=1
	s_andn2_saveexec_b64 s[2:3], s[20:21]
	s_cbranch_execz .LBB0_6
; %bb.5:                                ;   in Loop: Header=BB0_2 Depth=1
	v_cvt_f32_u32_e32 v1, s18
	s_sub_i32 s20, 0, s18
	v_mov_b32_e32 v11, v6
	v_rcp_iflag_f32_e32 v1, v1
	s_nop 0
	v_mul_f32_e32 v1, 0x4f7ffffe, v1
	v_cvt_u32_f32_e32 v1, v1
	v_mul_lo_u32 v5, s20, v1
	v_mul_hi_u32 v5, v1, v5
	v_add_u32_e32 v1, v1, v5
	v_mul_hi_u32 v1, v8, v1
	v_mul_lo_u32 v5, v1, s18
	v_sub_u32_e32 v5, v8, v5
	v_add_u32_e32 v7, 1, v1
	v_subrev_u32_e32 v10, s18, v5
	v_cmp_le_u32_e32 vcc, s18, v5
	s_nop 1
	v_cndmask_b32_e32 v5, v5, v10, vcc
	v_cndmask_b32_e32 v1, v1, v7, vcc
	v_add_u32_e32 v7, 1, v1
	v_cmp_le_u32_e32 vcc, s18, v5
	s_nop 1
	v_cndmask_b32_e32 v10, v1, v7, vcc
.LBB0_6:                                ;   in Loop: Header=BB0_2 Depth=1
	s_or_b64 exec, exec, s[2:3]
	v_mad_u64_u32 v[12:13], s[2:3], v10, s18, 0
	s_load_dwordx2 s[2:3], s[12:13], 0x0
	s_add_u32 s14, s14, 1
	v_mul_lo_u32 v1, v11, s18
	v_mul_lo_u32 v5, v10, s19
	s_addc_u32 s15, s15, 0
	v_add3_u32 v1, v13, v5, v1
	v_sub_co_u32_e32 v5, vcc, v8, v12
	s_add_u32 s12, s12, 8
	s_nop 0
	v_subb_co_u32_e32 v1, vcc, v9, v1, vcc
	s_addc_u32 s13, s13, 0
	v_mov_b64_e32 v[8:9], s[6:7]
	s_waitcnt lgkmcnt(0)
	v_mul_lo_u32 v1, s2, v1
	v_mul_lo_u32 v7, s3, v5
	v_mad_u64_u32 v[2:3], s[2:3], s2, v5, v[2:3]
	s_add_u32 s16, s16, 8
	v_cmp_ge_u64_e32 vcc, s[14:15], v[8:9]
	v_add3_u32 v3, v7, v3, v1
	s_addc_u32 s17, s17, 0
	s_cbranch_vccnz .LBB0_8
; %bb.7:                                ;   in Loop: Header=BB0_2 Depth=1
	v_mov_b64_e32 v[8:9], v[10:11]
	s_branch .LBB0_2
.LBB0_8:
	s_lshl_b64 s[2:3], s[6:7], 3
	s_add_u32 s2, s10, s2
	s_addc_u32 s3, s11, s3
	s_load_dwordx2 s[6:7], s[2:3], 0x0
	s_load_dwordx2 s[10:11], s[0:1], 0x20
	v_mov_b32_e32 v7, 0
	v_mov_b32_e32 v8, 0
	;; [unrolled: 1-line block ×3, first 2 shown]
	s_waitcnt lgkmcnt(0)
	v_mad_u64_u32 v[2:3], s[0:1], s6, v10, v[2:3]
	v_mul_lo_u32 v1, s6, v11
	v_mul_lo_u32 v5, s7, v10
	s_mov_b32 s0, 0x3531ded
	v_add3_u32 v3, v5, v3, v1
	v_mul_hi_u32 v1, v0, s0
	v_mul_u32_u24_e32 v1, 0x4d, v1
	v_cmp_gt_u64_e32 vcc, s[10:11], v[10:11]
	v_sub_u32_e32 v0, v0, v1
	v_lshl_add_u64 v[2:3], v[2:3], 2, s[8:9]
	v_mov_b32_e32 v31, 0
	v_mov_b32_e32 v32, 0
	;; [unrolled: 1-line block ×4, first 2 shown]
                                        ; implicit-def: $vgpr34
                                        ; implicit-def: $vgpr1
                                        ; implicit-def: $vgpr36
                                        ; implicit-def: $vgpr5
                                        ; implicit-def: $vgpr37
                                        ; implicit-def: $vgpr6
                                        ; implicit-def: $vgpr38
                                        ; implicit-def: $vgpr9
                                        ; implicit-def: $vgpr39
                                        ; implicit-def: $vgpr10
                                        ; implicit-def: $vgpr40
                                        ; implicit-def: $vgpr11
                                        ; implicit-def: $vgpr41
                                        ; implicit-def: $vgpr12
	s_and_saveexec_b64 s[0:1], vcc
	s_cbranch_execz .LBB0_10
; %bb.9:
	v_mov_b32_e32 v1, 0
	v_lshl_add_u64 v[16:17], v[0:1], 2, v[2:3]
	global_load_dword v1, v[16:17], off offset:2156
	global_load_dword v7, v[16:17], off
	global_load_dword v8, v[16:17], off offset:308
	global_load_dword v15, v[16:17], off offset:616
	;; [unrolled: 1-line block ×12, first 2 shown]
	s_waitcnt vmcnt(13)
	v_lshrrev_b32_e32 v34, 16, v1
	s_waitcnt vmcnt(6)
	v_lshrrev_b32_e32 v36, 16, v5
	;; [unrolled: 2-line block ×7, first 2 shown]
.LBB0_10:
	s_or_b64 exec, exec, s[0:1]
	s_mov_b32 s0, 0xaaaaaaab
	v_mul_hi_u32 v13, v4, s0
	v_lshrrev_b32_e32 v13, 1, v13
	v_lshl_add_u32 v13, v13, 1, v13
	v_sub_u32_e32 v4, v4, v13
	v_mul_u32_u24_e32 v4, 0x436, v4
	v_sub_f16_e32 v5, v8, v5
	v_sub_f16_e32 v16, v15, v6
	v_lshlrev_b32_e32 v6, 1, v4
	v_sub_f16_e32 v1, v7, v1
	v_fma_f16 v14, v8, 2.0, -v5
	v_add_u32_e32 v23, 0, v6
	v_add_u32_e32 v4, 0x4d, v0
	v_fma_f16 v13, v7, 2.0, -v1
	v_fma_f16 v17, v15, 2.0, -v16
	v_sub_f16_e32 v18, v31, v9
	v_sub_f16_e32 v20, v32, v10
	v_lshl_add_u32 v44, v4, 2, v23
	v_pack_b32_f16 v5, v14, v5
	v_fma_f16 v19, v31, 2.0, -v18
	v_fma_f16 v21, v32, 2.0, -v20
	v_sub_f16_e32 v9, v33, v11
	s_waitcnt vmcnt(0)
	v_sub_f16_e32 v10, v42, v12
	v_lshl_add_u32 v43, v0, 2, v23
	v_pack_b32_f16 v1, v13, v1
	ds_write_b32 v44, v5
	v_pack_b32_f16 v5, v17, v16
	v_fma_f16 v22, v33, 2.0, -v9
	v_fma_f16 v11, v42, 2.0, -v10
	ds_write2_b32 v43, v1, v5 offset1:154
	v_pack_b32_f16 v1, v19, v18
	v_pack_b32_f16 v5, v21, v20
	v_add_u32_e32 v13, 0x200, v43
	v_lshlrev_b32_e32 v12, 1, v0
	ds_write2_b32 v13, v1, v5 offset0:103 offset1:180
	v_pack_b32_f16 v1, v22, v9
	v_pack_b32_f16 v5, v11, v10
	v_add_u32_e32 v13, 0x400, v43
	ds_write2_b32 v13, v1, v5 offset0:129 offset1:206
	v_add_u32_e32 v1, v23, v12
	s_waitcnt lgkmcnt(0)
	s_barrier
	v_add3_u32 v5, 0, v12, v6
	ds_read_u16 v35, v1
	ds_read_u16 v29, v5 offset:196
	ds_read_u16 v28, v5 offset:392
	;; [unrolled: 1-line block ×10, first 2 shown]
	v_add_u32_e32 v47, 0x268, v43
	v_add_u32_e32 v46, 0x4d0, v43
	;; [unrolled: 1-line block ×3, first 2 shown]
	v_cmp_gt_u32_e64 s[0:1], 21, v0
                                        ; implicit-def: $vgpr14
                                        ; implicit-def: $vgpr16
                                        ; implicit-def: $vgpr17
                                        ; implicit-def: $vgpr30
                                        ; implicit-def: $vgpr26
                                        ; implicit-def: $vgpr21
                                        ; implicit-def: $vgpr18
                                        ; implicit-def: $vgpr22
	s_and_saveexec_b64 s[2:3], s[0:1]
	s_cbranch_execz .LBB0_12
; %bb.11:
	ds_read_u16 v9, v5 offset:154
	ds_read_u16 v11, v5 offset:350
	;; [unrolled: 1-line block ×11, first 2 shown]
.LBB0_12:
	s_or_b64 exec, exec, s[2:3]
	v_lshrrev_b32_e32 v7, 16, v7
	v_sub_f16_e32 v34, v7, v34
	v_fma_f16 v50, v7, 2.0, -v34
	v_lshrrev_b32_e32 v7, 16, v8
	v_sub_f16_e32 v8, v7, v36
	v_fma_f16 v36, v7, 2.0, -v8
	v_lshrrev_b32_e32 v7, 16, v15
	v_sub_f16_e32 v15, v7, v37
	v_fma_f16 v37, v7, 2.0, -v15
	v_lshrrev_b32_e32 v7, 16, v31
	v_sub_f16_e32 v31, v7, v38
	v_fma_f16 v38, v7, 2.0, -v31
	v_lshrrev_b32_e32 v7, 16, v32
	v_pack_b32_f16 v8, v36, v8
	v_sub_f16_e32 v32, v7, v39
	v_lshrrev_b32_e32 v33, 16, v33
	s_waitcnt lgkmcnt(0)
	s_barrier
	ds_write_b32 v44, v8
	v_pack_b32_f16 v8, v37, v15
	v_fma_f16 v39, v7, 2.0, -v32
	v_sub_f16_e32 v7, v33, v40
	v_lshrrev_b32_e32 v40, 16, v42
	v_pack_b32_f16 v34, v50, v34
	ds_write_b32 v47, v8
	v_pack_b32_f16 v8, v38, v31
	v_fma_f16 v33, v33, 2.0, -v7
	v_sub_f16_e32 v48, v40, v41
	ds_write2_b32 v43, v34, v8 offset1:231
	v_pack_b32_f16 v8, v39, v32
	v_fma_f16 v49, v40, 2.0, -v48
	ds_write_b32 v46, v8
	v_pack_b32_f16 v8, v33, v7
	ds_write_b32 v43, v8 offset:1540
	v_pack_b32_f16 v8, v49, v48
	ds_write_b32 v45, v8
	s_waitcnt lgkmcnt(0)
	s_barrier
	ds_read_u16 v15, v1
	ds_read_u16 v37, v5 offset:196
	ds_read_u16 v36, v5 offset:392
	;; [unrolled: 1-line block ×10, first 2 shown]
                                        ; implicit-def: $vgpr57
                                        ; implicit-def: $vgpr58
                                        ; implicit-def: $vgpr54
                                        ; implicit-def: $vgpr52
                                        ; implicit-def: $vgpr53
                                        ; implicit-def: $vgpr55
                                        ; implicit-def: $vgpr56
                                        ; implicit-def: $vgpr59
	s_and_saveexec_b64 s[2:3], s[0:1]
	s_cbranch_execz .LBB0_14
; %bb.13:
	ds_read_u16 v7, v5 offset:154
	ds_read_u16 v49, v5 offset:350
	;; [unrolled: 1-line block ×11, first 2 shown]
.LBB0_14:
	s_or_b64 exec, exec, s[2:3]
	v_and_b32_e32 v80, 1, v0
	v_mul_u32_u24_e32 v8, 10, v80
	v_lshlrev_b32_e32 v38, 2, v8
	v_and_b32_e32 v8, 1, v4
	v_mul_u32_u24_e32 v39, 10, v8
	global_load_dwordx4 v[60:63], v38, s[4:5]
	global_load_dwordx4 v[64:67], v38, s[4:5] offset:16
	v_lshlrev_b32_e32 v39, 2, v39
	global_load_dwordx4 v[68:71], v39, s[4:5]
	global_load_dwordx2 v[76:77], v38, s[4:5] offset:32
	global_load_dwordx4 v[72:75], v39, s[4:5] offset:16
	global_load_dwordx2 v[78:79], v39, s[4:5] offset:32
	s_movk_i32 s11, 0x3abb
	s_movk_i32 s13, 0x36a6
	s_mov_b32 s15, 0xb08e
	s_mov_b32 s18, 0xb93d
	;; [unrolled: 1-line block ×8, first 2 shown]
	s_movk_i32 s17, 0x3482
	s_movk_i32 s8, 0x3beb
	;; [unrolled: 1-line block ×4, first 2 shown]
	s_waitcnt lgkmcnt(0)
	s_barrier
	s_waitcnt vmcnt(5)
	v_mul_f16_sdwa v38, v37, v60 dst_sel:DWORD dst_unused:UNUSED_PAD src0_sel:DWORD src1_sel:WORD_1
	v_mul_f16_sdwa v40, v36, v61 dst_sel:DWORD dst_unused:UNUSED_PAD src0_sel:DWORD src1_sel:WORD_1
	;; [unrolled: 1-line block ×8, first 2 shown]
	s_waitcnt vmcnt(4)
	v_mul_f16_sdwa v84, v32, v64 dst_sel:DWORD dst_unused:UNUSED_PAD src0_sel:DWORD src1_sel:WORD_1
	v_fma_f16 v46, v29, v60, v38
	v_mul_f16_sdwa v29, v24, v64 dst_sel:DWORD dst_unused:UNUSED_PAD src0_sel:DWORD src1_sel:WORD_1
	v_fma_f16 v42, v28, v61, v40
	v_mul_f16_sdwa v28, v23, v65 dst_sel:DWORD dst_unused:UNUSED_PAD src0_sel:DWORD src1_sel:WORD_1
	v_fma_f16 v43, v36, v61, -v43
	v_fma_f16 v38, v27, v62, v44
	v_mul_f16_sdwa v27, v20, v66 dst_sel:DWORD dst_unused:UNUSED_PAD src0_sel:DWORD src1_sel:WORD_1
	v_fma_f16 v40, v33, v62, -v81
	v_fma_f16 v36, v25, v63, v82
	v_mul_f16_sdwa v25, v19, v67 dst_sel:DWORD dst_unused:UNUSED_PAD src0_sel:DWORD src1_sel:WORD_1
	s_waitcnt vmcnt(3)
	v_mul_f16_sdwa v61, v49, v68 dst_sel:DWORD dst_unused:UNUSED_PAD src0_sel:DWORD src1_sel:WORD_1
	v_mul_f16_sdwa v62, v11, v68 dst_sel:DWORD dst_unused:UNUSED_PAD src0_sel:DWORD src1_sel:WORD_1
	v_fma_f16 v47, v37, v60, -v39
	v_mul_f16_sdwa v39, v34, v65 dst_sel:DWORD dst_unused:UNUSED_PAD src0_sel:DWORD src1_sel:WORD_1
	v_mul_f16_sdwa v60, v41, v66 dst_sel:DWORD dst_unused:UNUSED_PAD src0_sel:DWORD src1_sel:WORD_1
	;; [unrolled: 1-line block ×3, first 2 shown]
	v_fma_f16 v37, v31, v63, -v83
	v_mul_f16_sdwa v63, v48, v69 dst_sel:DWORD dst_unused:UNUSED_PAD src0_sel:DWORD src1_sel:WORD_1
	v_mul_f16_sdwa v82, v57, v70 dst_sel:DWORD dst_unused:UNUSED_PAD src0_sel:DWORD src1_sel:WORD_1
	v_fma_f16 v31, v24, v64, v84
	v_fma_f16 v32, v32, v64, -v29
	v_mul_f16_sdwa v29, v58, v71 dst_sel:DWORD dst_unused:UNUSED_PAD src0_sel:DWORD src1_sel:WORD_1
	v_fma_f16 v34, v34, v65, -v28
	v_fma_f16 v41, v41, v66, -v27
	s_waitcnt vmcnt(2)
	v_mul_f16_sdwa v84, v12, v77 dst_sel:DWORD dst_unused:UNUSED_PAD src0_sel:DWORD src1_sel:WORD_1
	v_fma_f16 v45, v45, v67, -v25
	s_waitcnt vmcnt(1)
	v_mul_f16_sdwa v25, v54, v72 dst_sel:DWORD dst_unused:UNUSED_PAD src0_sel:DWORD src1_sel:WORD_1
	v_fma_f16 v27, v11, v68, v61
	v_fma_f16 v28, v49, v68, -v62
	s_waitcnt vmcnt(0)
	v_mul_f16_sdwa v68, v53, v78 dst_sel:DWORD dst_unused:UNUSED_PAD src0_sel:DWORD src1_sel:WORD_1
	v_mul_f16_sdwa v81, v10, v69 dst_sel:DWORD dst_unused:UNUSED_PAD src0_sel:DWORD src1_sel:WORD_1
	;; [unrolled: 1-line block ×3, first 2 shown]
	v_fma_f16 v33, v23, v65, v39
	v_fma_f16 v39, v20, v66, v60
	v_mul_f16_sdwa v60, v13, v76 dst_sel:DWORD dst_unused:UNUSED_PAD src0_sel:DWORD src1_sel:WORD_1
	v_mul_f16_sdwa v66, v51, v77 dst_sel:DWORD dst_unused:UNUSED_PAD src0_sel:DWORD src1_sel:WORD_1
	v_fma_f16 v44, v19, v67, v44
	v_fma_f16 v23, v10, v69, v63
	;; [unrolled: 1-line block ×4, first 2 shown]
	v_fma_f16 v51, v51, v77, -v84
	v_fma_f16 v10, v17, v72, v25
	v_fma_f16 v25, v26, v78, v68
	v_mul_f16_sdwa v26, v26, v78 dst_sel:DWORD dst_unused:UNUSED_PAD src0_sel:DWORD src1_sel:WORD_1
	v_mul_f16_sdwa v29, v52, v79 dst_sel:DWORD dst_unused:UNUSED_PAD src0_sel:DWORD src1_sel:WORD_1
	;; [unrolled: 1-line block ×9, first 2 shown]
	v_fma_f16 v49, v50, v76, -v60
	v_fma_f16 v50, v12, v77, v66
	v_fma_f16 v26, v53, v78, -v26
	v_fma_f16 v29, v30, v79, v29
	v_mul_f16_sdwa v30, v30, v79 dst_sel:DWORD dst_unused:UNUSED_PAD src0_sel:DWORD src1_sel:WORD_1
	v_sub_f16_e32 v53, v47, v51
	v_mul_f16_sdwa v86, v22, v73 dst_sel:DWORD dst_unused:UNUSED_PAD src0_sel:DWORD src1_sel:WORD_1
	v_mul_f16_sdwa v62, v55, v75 dst_sel:DWORD dst_unused:UNUSED_PAD src0_sel:DWORD src1_sel:WORD_1
	v_fma_f16 v24, v48, v69, -v81
	v_fma_f16 v16, v58, v71, -v64
	v_fma_f16 v48, v13, v76, v65
	v_fma_f16 v11, v54, v72, -v67
	v_fma_f16 v12, v22, v73, v85
	v_fma_f16 v17, v18, v74, v87
	v_fma_f16 v18, v56, v74, -v61
	v_fma_f16 v22, v55, v75, -v63
	;; [unrolled: 1-line block ×3, first 2 shown]
	v_add_f16_e32 v52, v46, v50
	v_mul_f16_e32 v54, 0xb853, v53
	v_mul_f16_e32 v56, 0xbb47, v53
	v_mul_f16_e32 v58, 0xbbeb, v53
	v_mul_f16_e32 v60, 0xba0c, v53
	v_mul_f16_e32 v53, 0xb482, v53
	v_sub_f16_e32 v63, v43, v49
	v_fma_f16 v20, v57, v70, -v83
	v_fma_f16 v13, v59, v73, -v86
	v_fma_f16 v21, v21, v75, v62
	v_fma_f16 v55, v52, s11, v54
	v_fma_f16 v54, v52, s11, -v54
	v_fma_f16 v57, v52, s13, v56
	v_fma_f16 v56, v52, s13, -v56
	;; [unrolled: 2-line block ×5, first 2 shown]
	v_add_f16_e32 v53, v42, v48
	v_mul_f16_e32 v64, 0xbb47, v63
	v_fma_f16 v65, v53, s13, v64
	v_add_f16_e32 v54, v35, v54
	v_fma_f16 v64, v53, s13, -v64
	v_add_f16_e32 v55, v35, v55
	v_add_f16_e32 v54, v64, v54
	v_mul_f16_e32 v64, 0xba0c, v63
	v_add_f16_e32 v55, v65, v55
	v_fma_f16 v65, v53, s18, v64
	v_add_f16_e32 v56, v35, v56
	v_fma_f16 v64, v53, s18, -v64
	v_add_f16_e32 v57, v35, v57
	v_add_f16_e32 v56, v64, v56
	v_mul_f16_e32 v64, 0x3482, v63
	v_add_f16_e32 v57, v65, v57
	;; [unrolled: 7-line block ×3, first 2 shown]
	v_fma_f16 v65, v53, s15, v64
	v_add_f16_e32 v60, v35, v60
	v_fma_f16 v64, v53, s15, -v64
	v_mul_f16_e32 v63, 0x3853, v63
	v_add_f16_e32 v62, v35, v62
	v_add_f16_e32 v52, v35, v52
	v_add_f16_e32 v60, v64, v60
	v_fma_f16 v64, v53, s11, v63
	v_fma_f16 v53, v53, s11, -v63
	v_sub_f16_e32 v63, v40, v45
	v_add_f16_e32 v61, v35, v61
	v_add_f16_e32 v62, v64, v62
	;; [unrolled: 1-line block ×4, first 2 shown]
	v_mul_f16_e32 v64, 0xbbeb, v63
	v_add_f16_e32 v61, v65, v61
	v_fma_f16 v65, v53, s15, v64
	v_fma_f16 v64, v53, s15, -v64
	v_add_f16_e32 v54, v64, v54
	v_mul_f16_e32 v64, 0x3482, v63
	v_add_f16_e32 v55, v65, v55
	v_fma_f16 v65, v53, s19, v64
	v_fma_f16 v64, v53, s19, -v64
	v_add_f16_e32 v56, v64, v56
	;; [unrolled: 5-line block ×3, first 2 shown]
	v_mul_f16_e32 v64, 0xb853, v63
	v_add_f16_e32 v59, v65, v59
	v_fma_f16 v65, v53, s11, v64
	v_fma_f16 v64, v53, s11, -v64
	v_mul_f16_e32 v63, 0xba0c, v63
	v_add_f16_e32 v60, v64, v60
	v_fma_f16 v64, v53, s18, v63
	v_fma_f16 v53, v53, s18, -v63
	v_sub_f16_e32 v63, v37, v41
	v_add_f16_e32 v62, v64, v62
	v_add_f16_e32 v52, v53, v52
	;; [unrolled: 1-line block ×3, first 2 shown]
	v_mul_f16_e32 v64, 0xba0c, v63
	v_add_f16_e32 v61, v65, v61
	v_fma_f16 v65, v53, s18, v64
	v_fma_f16 v64, v53, s18, -v64
	v_add_f16_e32 v54, v64, v54
	v_mul_f16_e32 v64, 0x3beb, v63
	v_add_f16_e32 v55, v65, v55
	v_fma_f16 v65, v53, s15, v64
	v_fma_f16 v64, v53, s15, -v64
	v_add_f16_e32 v56, v64, v56
	;; [unrolled: 5-line block ×3, first 2 shown]
	v_mul_f16_e32 v64, 0xb482, v63
	v_add_f16_e32 v59, v65, v59
	v_fma_f16 v65, v53, s19, v64
	v_fma_f16 v64, v53, s19, -v64
	v_mul_f16_e32 v63, 0x3b47, v63
	v_add_f16_e32 v60, v64, v60
	v_fma_f16 v64, v53, s13, v63
	v_fma_f16 v53, v53, s13, -v63
	v_sub_f16_e32 v63, v32, v34
	v_add_f16_e32 v62, v64, v62
	v_add_f16_e32 v52, v53, v52
	;; [unrolled: 1-line block ×3, first 2 shown]
	v_mul_f16_e32 v64, 0xb482, v63
	v_add_f16_e32 v61, v65, v61
	v_fma_f16 v65, v53, s19, v64
	v_fma_f16 v64, v53, s19, -v64
	v_add_f16_e32 v54, v64, v54
	v_mul_f16_e32 v64, 0x3853, v63
	v_add_f16_e32 v55, v65, v55
	v_fma_f16 v65, v53, s11, v64
	v_fma_f16 v64, v53, s11, -v64
	v_add_f16_e32 v56, v64, v56
	v_mul_f16_e32 v64, 0xba0c, v63
	v_add_f16_e32 v35, v35, v46
	v_add_f16_e32 v57, v65, v57
	v_fma_f16 v65, v53, s18, v64
	v_fma_f16 v64, v53, s18, -v64
	v_add_f16_e32 v35, v35, v42
	v_add_f16_e32 v58, v64, v58
	v_mul_f16_e32 v64, 0x3b47, v63
	v_add_f16_e32 v35, v35, v38
	v_add_f16_e32 v59, v65, v59
	v_fma_f16 v65, v53, s13, v64
	v_add_f16_e32 v35, v35, v36
	v_fma_f16 v64, v53, s13, -v64
	v_mul_f16_e32 v63, 0xbbeb, v63
	v_add_f16_e32 v35, v35, v31
	v_add_f16_e32 v60, v64, v60
	v_fma_f16 v64, v53, s15, v63
	v_fma_f16 v53, v53, s15, -v63
	v_add_f16_e32 v35, v35, v33
	v_add_f16_e32 v53, v53, v52
	v_lshrrev_b32_e32 v52, 1, v0
	v_add_f16_e32 v35, v35, v39
	v_mul_u32_u24_e32 v52, 22, v52
	v_add_f16_e32 v35, v35, v44
	v_or_b32_e32 v52, v52, v80
	v_add_f16_e32 v35, v35, v48
	v_lshlrev_b32_e32 v52, 1, v52
	v_add_f16_e32 v35, v35, v50
	v_add3_u32 v52, 0, v52, v6
	v_add_f16_e32 v61, v65, v61
	v_add_f16_e32 v62, v64, v62
	ds_write_b16 v52, v35
	ds_write_b16 v52, v55 offset:4
	ds_write_b16 v52, v57 offset:8
	;; [unrolled: 1-line block ×10, first 2 shown]
	v_lshrrev_b32_e32 v35, 1, v4
	s_and_saveexec_b64 s[2:3], s[0:1]
	s_cbranch_execz .LBB0_16
; %bb.15:
	v_sub_f16_e32 v55, v28, v30
	v_add_f16_e32 v54, v27, v29
	v_mul_f16_e32 v56, 0xb482, v55
	v_sub_f16_e32 v59, v24, v26
	v_fma_f16 v57, v54, s19, -v56
	v_add_f16_e32 v58, v23, v25
	v_mul_f16_e32 v60, 0x3853, v59
	v_add_f16_e32 v57, v9, v57
	v_fma_f16 v61, v58, s11, -v60
	v_sub_f16_e32 v62, v20, v22
	v_add_f16_e32 v57, v61, v57
	v_add_f16_e32 v61, v19, v21
	v_mul_f16_e32 v63, 0xba0c, v62
	v_fma_f16 v64, v61, s18, -v63
	v_sub_f16_e32 v65, v16, v18
	v_fma_f16 v56, v54, s19, v56
	v_add_f16_e32 v57, v64, v57
	v_add_f16_e32 v64, v14, v17
	v_mul_f16_e32 v66, 0x3b47, v65
	v_add_f16_e32 v56, v9, v56
	v_fma_f16 v60, v58, s11, v60
	v_fma_f16 v67, v64, s13, -v66
	v_sub_f16_e32 v68, v11, v13
	v_add_f16_e32 v56, v60, v56
	v_fma_f16 v60, v61, s18, v63
	v_add_f16_e32 v57, v67, v57
	v_add_f16_e32 v67, v10, v12
	v_mul_f16_e32 v69, 0xbbeb, v68
	v_add_f16_e32 v56, v60, v56
	v_fma_f16 v60, v64, s13, v66
	v_add_f16_e32 v56, v60, v56
	v_fma_f16 v60, v67, s15, v69
	v_add_f16_e32 v56, v60, v56
	v_mul_f16_e32 v60, 0xba0c, v55
	v_fma_f16 v63, v54, s18, -v60
	v_mul_f16_e32 v66, 0x3beb, v59
	v_fma_f16 v70, v67, s15, -v69
	v_add_f16_e32 v63, v9, v63
	v_fma_f16 v69, v58, s15, -v66
	v_add_f16_e32 v63, v69, v63
	v_mul_f16_e32 v69, 0xb853, v62
	v_add_f16_e32 v57, v70, v57
	v_fma_f16 v70, v61, s11, -v69
	v_fma_f16 v60, v54, s18, v60
	v_add_f16_e32 v63, v70, v63
	v_mul_f16_e32 v70, 0xb482, v65
	v_add_f16_e32 v60, v9, v60
	v_fma_f16 v66, v58, s15, v66
	v_fma_f16 v71, v64, s19, -v70
	v_add_f16_e32 v60, v66, v60
	v_fma_f16 v66, v61, s11, v69
	v_add_f16_e32 v63, v71, v63
	v_mul_f16_e32 v71, 0x3b47, v68
	v_add_f16_e32 v60, v66, v60
	v_fma_f16 v66, v64, s19, v70
	v_add_f16_e32 v60, v66, v60
	v_fma_f16 v66, v67, s13, v71
	v_add_f16_e32 v60, v66, v60
	v_mul_f16_e32 v66, 0xbbeb, v55
	v_fma_f16 v69, v54, s15, -v66
	v_mul_f16_e32 v70, 0x3482, v59
	v_fma_f16 v72, v67, s13, -v71
	v_add_f16_e32 v69, v9, v69
	v_fma_f16 v71, v58, s19, -v70
	v_add_f16_e32 v69, v71, v69
	v_mul_f16_e32 v71, 0x3b47, v62
	v_add_f16_e32 v63, v72, v63
	v_fma_f16 v72, v61, s13, -v71
	v_fma_f16 v66, v54, s15, v66
	v_add_f16_e32 v69, v72, v69
	v_mul_f16_e32 v72, 0xb853, v65
	v_add_f16_e32 v66, v9, v66
	v_fma_f16 v70, v58, s19, v70
	v_fma_f16 v73, v64, s11, -v72
	v_add_f16_e32 v66, v70, v66
	v_fma_f16 v70, v61, s13, v71
	;; [unrolled: 25-line block ×3, first 2 shown]
	v_add_f16_e32 v71, v75, v71
	v_mul_f16_e32 v75, 0x3853, v68
	v_add_f16_e32 v70, v72, v70
	v_fma_f16 v72, v64, s15, v74
	v_add_f16_e32 v53, v9, v27
	v_add_f16_e32 v70, v72, v70
	v_fma_f16 v72, v67, s11, v75
	v_mul_f16_e32 v55, 0xb853, v55
	v_add_f16_e32 v53, v53, v23
	v_add_f16_e32 v70, v72, v70
	v_fma_f16 v72, v54, s11, -v55
	v_mul_f16_e32 v59, 0xbb47, v59
	v_fma_f16 v54, v54, s11, v55
	v_add_f16_e32 v53, v53, v19
	v_add_f16_e32 v72, v9, v72
	v_mul_f16_e32 v62, 0xbbeb, v62
	v_add_f16_e32 v9, v9, v54
	v_fma_f16 v54, v58, s13, v59
	v_add_f16_e32 v53, v53, v14
	v_mul_f16_e32 v65, 0xba0c, v65
	v_add_f16_e32 v9, v54, v9
	v_fma_f16 v54, v61, s15, v62
	;; [unrolled: 4-line block ×3, first 2 shown]
	v_add_f16_e32 v53, v53, v12
	v_add_f16_e32 v9, v54, v9
	v_fma_f16 v54, v67, s19, v68
	v_add_f16_e32 v53, v53, v17
	v_fma_f16 v73, v58, s13, -v59
	v_add_f16_e32 v9, v54, v9
	v_mul_u32_u24_e32 v54, 22, v35
	v_add_f16_e32 v53, v53, v21
	v_add_f16_e32 v72, v73, v72
	v_fma_f16 v73, v61, s15, -v62
	v_or_b32_e32 v54, v54, v8
	v_add_f16_e32 v53, v53, v25
	v_add_f16_e32 v72, v73, v72
	v_fma_f16 v73, v64, s18, -v65
	v_lshlrev_b32_e32 v54, 1, v54
	v_add_f16_e32 v53, v53, v29
	v_fma_f16 v76, v67, s11, -v75
	v_add_f16_e32 v72, v73, v72
	v_fma_f16 v73, v67, s19, -v68
	v_add3_u32 v54, 0, v54, v6
	v_add_f16_e32 v71, v76, v71
	v_add_f16_e32 v72, v73, v72
	ds_write_b16 v54, v53
	ds_write_b16 v54, v9 offset:4
	ds_write_b16 v54, v70 offset:8
	;; [unrolled: 1-line block ×10, first 2 shown]
.LBB0_16:
	s_or_b64 exec, exec, s[2:3]
	v_add_f16_e32 v9, v15, v47
	v_add_f16_e32 v9, v9, v43
	;; [unrolled: 1-line block ×11, first 2 shown]
	v_sub_f16_e32 v46, v46, v50
	v_mul_f16_e32 v47, 0x3abb, v9
	v_mul_f16_e32 v51, 0x36a6, v9
	;; [unrolled: 1-line block ×4, first 2 shown]
	s_movk_i32 s11, 0x3a0c
	v_mul_f16_e32 v9, 0xbbad, v9
	v_fma_f16 v50, v46, s14, v47
	v_fma_f16 v47, v46, s12, v47
	;; [unrolled: 1-line block ×10, first 2 shown]
	v_add_f16_e32 v50, v15, v50
	v_add_f16_e32 v47, v15, v47
	;; [unrolled: 1-line block ×11, first 2 shown]
	v_sub_f16_e32 v42, v42, v48
	v_mul_f16_e32 v43, 0x36a6, v15
	v_fma_f16 v46, v42, s10, v43
	v_fma_f16 v43, v42, s7, v43
	v_add_f16_e32 v43, v43, v47
	v_mul_f16_e32 v47, 0xb93d, v15
	v_fma_f16 v48, v42, s11, v47
	v_fma_f16 v47, v42, s9, v47
	v_mul_f16_e32 v49, 0xbbad, v15
	v_add_f16_e32 v46, v46, v50
	v_add_f16_e32 v47, v47, v51
	v_fma_f16 v50, v42, s16, v49
	v_fma_f16 v49, v42, s17, v49
	v_mul_f16_e32 v51, 0xb08e, v15
	v_mul_f16_e32 v15, 0x3abb, v15
	v_add_f16_e32 v49, v49, v55
	v_fma_f16 v55, v42, s12, v15
	v_fma_f16 v15, v42, s14, v15
	v_add_f16_e32 v9, v15, v9
	v_add_f16_e32 v15, v40, v45
	v_sub_f16_e32 v38, v38, v44
	v_mul_f16_e32 v40, 0xb08e, v15
	v_add_f16_e32 v48, v48, v54
	v_fma_f16 v54, v42, s6, v51
	v_fma_f16 v51, v42, s8, v51
	;; [unrolled: 1-line block ×4, first 2 shown]
	v_add_f16_e32 v40, v40, v43
	v_mul_f16_e32 v43, 0xbbad, v15
	v_fma_f16 v44, v38, s16, v43
	v_fma_f16 v43, v38, s17, v43
	v_mul_f16_e32 v45, 0x36a6, v15
	v_add_f16_e32 v42, v42, v46
	v_add_f16_e32 v43, v43, v47
	v_fma_f16 v46, v38, s7, v45
	v_fma_f16 v45, v38, s10, v45
	v_mul_f16_e32 v47, 0x3abb, v15
	v_mul_f16_e32 v15, 0xb93d, v15
	v_add_f16_e32 v45, v45, v49
	v_fma_f16 v49, v38, s11, v15
	v_fma_f16 v15, v38, s9, v15
	v_add_f16_e32 v9, v15, v9
	v_add_f16_e32 v15, v37, v41
	v_sub_f16_e32 v36, v36, v39
	v_mul_f16_e32 v37, 0xb93d, v15
	v_add_f16_e32 v44, v44, v48
	v_fma_f16 v48, v38, s14, v47
	v_fma_f16 v47, v38, s12, v47
	v_fma_f16 v38, v36, s11, v37
	v_fma_f16 v37, v36, s9, v37
	v_mul_f16_e32 v39, 0xb08e, v15
	v_add_f16_e32 v37, v37, v40
	v_fma_f16 v40, v36, s6, v39
	v_fma_f16 v39, v36, s8, v39
	v_mul_f16_e32 v41, 0x3abb, v15
	v_add_f16_e32 v38, v38, v42
	v_add_f16_e32 v39, v39, v43
	v_fma_f16 v42, v36, s14, v41
	v_fma_f16 v41, v36, s12, v41
	v_mul_f16_e32 v43, 0xbbad, v15
	v_mul_f16_e32 v15, 0x36a6, v15
	v_add_f16_e32 v41, v41, v45
	v_fma_f16 v45, v36, s7, v15
	v_fma_f16 v15, v36, s10, v15
	v_add_f16_e32 v9, v15, v9
	v_add_f16_e32 v15, v32, v34
	;; [unrolled: 1-line block ×3, first 2 shown]
	v_sub_f16_e32 v31, v31, v33
	v_mul_f16_e32 v32, 0xbbad, v15
	v_add_f16_e32 v50, v50, v56
	v_add_f16_e32 v47, v47, v51
	;; [unrolled: 1-line block ×3, first 2 shown]
	v_fma_f16 v44, v36, s17, v43
	v_fma_f16 v43, v36, s16, v43
	;; [unrolled: 1-line block ×4, first 2 shown]
	v_add_f16_e32 v55, v55, v59
	v_add_f16_e32 v46, v46, v50
	;; [unrolled: 1-line block ×4, first 2 shown]
	v_mul_f16_e32 v32, 0x3abb, v15
	v_add_f16_e32 v54, v54, v58
	v_add_f16_e32 v49, v49, v55
	;; [unrolled: 1-line block ×4, first 2 shown]
	v_fma_f16 v33, v31, s12, v32
	v_fma_f16 v32, v31, s14, v32
	v_add_f16_e32 v48, v48, v54
	v_add_f16_e32 v45, v45, v49
	v_add_f16_e32 v49, v32, v39
	v_mul_f16_e32 v32, 0xb93d, v15
	v_add_f16_e32 v44, v44, v48
	v_add_f16_e32 v48, v33, v40
	v_fma_f16 v33, v31, s11, v32
	v_fma_f16 v32, v31, s9, v32
	v_add_f16_e32 v51, v32, v41
	v_mul_f16_e32 v32, 0x36a6, v15
	v_add_f16_e32 v50, v33, v42
	v_fma_f16 v33, v31, s7, v32
	v_fma_f16 v32, v31, s10, v32
	v_mul_f16_e32 v15, 0xb08e, v15
	v_add_f16_e32 v54, v32, v43
	v_fma_f16 v32, v31, s8, v15
	v_fma_f16 v15, v31, s6, v15
	v_add_f16_e32 v44, v33, v44
	v_add_f16_e32 v45, v32, v45
	;; [unrolled: 1-line block ×3, first 2 shown]
	s_waitcnt lgkmcnt(0)
	s_barrier
	ds_read_u16 v15, v1
	ds_read_u16 v33, v5 offset:1232
	ds_read_u16 v31, v5 offset:1078
	ds_read_u16 v39, v5 offset:924
	ds_read_u16 v34, v5 offset:770
	ds_read_u16 v41, v5 offset:616
	ds_read_u16 v37, v5 offset:462
	ds_read_u16 v43, v5 offset:308
	ds_read_u16 v9, v5 offset:154
	ds_read_u16 v32, v5 offset:2002
	ds_read_u16 v40, v5 offset:1848
	ds_read_u16 v36, v5 offset:1694
	ds_read_u16 v42, v5 offset:1540
	ds_read_u16 v38, v5 offset:1386
	s_waitcnt lgkmcnt(0)
	s_barrier
	ds_write_b16 v52, v53
	ds_write_b16 v52, v46 offset:4
	ds_write_b16 v52, v48 offset:8
	;; [unrolled: 1-line block ×10, first 2 shown]
	s_and_saveexec_b64 s[2:3], s[0:1]
	s_cbranch_execz .LBB0_18
; %bb.17:
	v_add_f16_e32 v44, v7, v28
	v_add_f16_e32 v44, v44, v24
	;; [unrolled: 1-line block ×10, first 2 shown]
	v_sub_f16_e32 v27, v27, v29
	v_mul_f16_e32 v29, 0x3abb, v28
	s_movk_i32 s0, 0x3853
	s_mov_b32 s1, 0xb853
	v_mul_f16_e32 v45, 0x36a6, v28
	s_movk_i32 s6, 0x3b47
	v_mul_f16_e32 v47, 0xb08e, v28
	s_mov_b32 s9, 0xbbeb
	v_mul_f16_e32 v49, 0xb93d, v28
	s_mov_b32 s10, 0xba0c
	v_mul_f16_e32 v28, 0xbbad, v28
	s_movk_i32 s12, 0x3482
	s_mov_b32 s13, 0xb482
	v_add_f16_e32 v24, v24, v26
	v_add_f16_e32 v44, v44, v30
	v_fma_f16 v30, v27, s0, v29
	v_fma_f16 v29, v27, s1, v29
	;; [unrolled: 1-line block ×10, first 2 shown]
	v_sub_f16_e32 v23, v23, v25
	v_mul_f16_e32 v25, 0x36a6, v24
	v_add_f16_e32 v30, v7, v30
	v_add_f16_e32 v29, v7, v29
	;; [unrolled: 1-line block ×10, first 2 shown]
	v_fma_f16 v26, v23, s6, v25
	v_fma_f16 v25, v23, s7, v25
	v_mul_f16_e32 v27, 0xb93d, v24
	v_add_f16_e32 v25, v25, v29
	v_fma_f16 v28, v23, s11, v27
	v_fma_f16 v27, v23, s10, v27
	v_mul_f16_e32 v29, 0xbbad, v24
	v_add_f16_e32 v26, v26, v30
	v_add_f16_e32 v27, v27, v45
	v_fma_f16 v30, v23, s13, v29
	v_fma_f16 v29, v23, s12, v29
	v_mul_f16_e32 v45, 0xb08e, v24
	v_mul_f16_e32 v24, 0x3abb, v24
	v_add_f16_e32 v20, v20, v22
	v_add_f16_e32 v28, v28, v46
	v_add_f16_e32 v29, v29, v47
	v_fma_f16 v46, v23, s9, v45
	v_fma_f16 v45, v23, s8, v45
	v_fma_f16 v47, v23, s1, v24
	v_fma_f16 v23, v23, s0, v24
	v_sub_f16_e32 v19, v19, v21
	v_mul_f16_e32 v21, 0xb08e, v20
	v_add_f16_e32 v7, v23, v7
	v_fma_f16 v22, v19, s8, v21
	v_fma_f16 v21, v19, s9, v21
	v_mul_f16_e32 v23, 0xbbad, v20
	v_add_f16_e32 v21, v21, v25
	v_fma_f16 v24, v19, s13, v23
	v_fma_f16 v23, v19, s12, v23
	v_mul_f16_e32 v25, 0x36a6, v20
	v_add_f16_e32 v22, v22, v26
	v_add_f16_e32 v23, v23, v27
	v_fma_f16 v26, v19, s7, v25
	v_fma_f16 v25, v19, s6, v25
	v_mul_f16_e32 v27, 0x3abb, v20
	v_mul_f16_e32 v20, 0xb93d, v20
	v_add_f16_e32 v16, v16, v18
	v_add_f16_e32 v24, v24, v28
	v_add_f16_e32 v25, v25, v29
	v_fma_f16 v28, v19, s0, v27
	v_fma_f16 v27, v19, s1, v27
	v_fma_f16 v29, v19, s11, v20
	v_fma_f16 v19, v19, s10, v20
	v_sub_f16_e32 v14, v14, v17
	v_mul_f16_e32 v17, 0xb93d, v16
	v_add_f16_e32 v7, v19, v7
	;; [unrolled: 23-line block ×3, first 2 shown]
	v_fma_f16 v13, v10, s12, v12
	v_fma_f16 v12, v10, s13, v12
	v_mul_f16_e32 v14, 0x3abb, v11
	v_add_f16_e32 v12, v12, v17
	v_fma_f16 v16, v10, s1, v14
	v_fma_f16 v14, v10, s0, v14
	v_mul_f16_e32 v17, 0xb93d, v11
	v_add_f16_e32 v13, v13, v18
	v_add_f16_e32 v14, v14, v19
	v_fma_f16 v18, v10, s11, v17
	v_fma_f16 v17, v10, s10, v17
	v_mul_f16_e32 v19, 0x36a6, v11
	v_mul_f16_e32 v11, 0xb08e, v11
	v_add_f16_e32 v16, v16, v20
	v_add_f16_e32 v17, v17, v21
	v_fma_f16 v20, v10, s7, v19
	v_fma_f16 v19, v10, s6, v19
	;; [unrolled: 1-line block ×4, first 2 shown]
	v_add_f16_e32 v7, v10, v7
	v_mul_u32_u24_e32 v10, 22, v35
	v_add_f16_e32 v30, v30, v48
	v_add_f16_e32 v46, v46, v50
	;; [unrolled: 1-line block ×4, first 2 shown]
	v_or_b32_e32 v8, v10, v8
	v_add_f16_e32 v26, v26, v30
	v_add_f16_e32 v28, v28, v46
	;; [unrolled: 1-line block ×4, first 2 shown]
	v_lshlrev_b32_e32 v8, 1, v8
	v_add_f16_e32 v22, v22, v26
	v_add_f16_e32 v24, v24, v28
	;; [unrolled: 1-line block ×4, first 2 shown]
	v_add3_u32 v8, 0, v8, v6
	v_add_f16_e32 v18, v18, v22
	v_add_f16_e32 v20, v20, v24
	v_add_f16_e32 v19, v19, v23
	v_add_f16_e32 v21, v21, v25
	ds_write_b16 v8, v44
	ds_write_b16 v8, v13 offset:4
	ds_write_b16 v8, v16 offset:8
	;; [unrolled: 1-line block ×10, first 2 shown]
.LBB0_18:
	s_or_b64 exec, exec, s[2:3]
	v_lshrrev_b16_e32 v7, 1, v0
	v_and_b32_e32 v7, 0x7f, v7
	v_mul_lo_u16_e32 v7, 0xbb, v7
	v_lshrrev_b16_e32 v7, 11, v7
	v_mul_lo_u16_e32 v8, 22, v7
	v_sub_u16_e32 v8, v0, v8
	v_mov_b32_e32 v14, 6
	v_mul_u32_u24_sdwa v10, v8, v14 dst_sel:DWORD dst_unused:UNUSED_PAD src0_sel:BYTE_0 src1_sel:DWORD
	v_lshlrev_b32_e32 v16, 2, v10
	s_waitcnt lgkmcnt(0)
	s_barrier
	global_load_dwordx4 v[10:13], v16, s[4:5] offset:80
	global_load_dwordx2 v[20:21], v16, s[4:5] offset:96
	v_lshrrev_b16_e32 v16, 1, v4
	v_and_b32_e32 v16, 0x7f, v16
	v_mul_lo_u16_e32 v16, 0xbb, v16
	v_lshrrev_b16_e32 v24, 11, v16
	v_mul_lo_u16_e32 v16, 22, v24
	v_sub_u16_e32 v25, v4, v16
	v_mul_u32_u24_sdwa v14, v25, v14 dst_sel:DWORD dst_unused:UNUSED_PAD src0_sel:BYTE_0 src1_sel:DWORD
	v_lshlrev_b32_e32 v14, 2, v14
	global_load_dwordx4 v[16:19], v14, s[4:5] offset:80
	global_load_dwordx2 v[22:23], v14, s[4:5] offset:96
	ds_read_u16 v14, v1
	ds_read_u16 v26, v5 offset:1232
	ds_read_u16 v27, v5 offset:1078
	;; [unrolled: 1-line block ×13, first 2 shown]
	s_movk_i32 s10, 0x2b26
	s_mov_b32 s0, 0xbb00
	s_mov_b32 s8, 0xbcab
	s_movk_i32 s1, 0x39e0
	s_mov_b32 s2, 0xb9e0
	s_mov_b32 s9, 0xb574
	s_movk_i32 s3, 0x3574
	s_mov_b32 s6, 0xb70e
	s_waitcnt lgkmcnt(0)
	s_barrier
	s_movk_i32 s7, 0x3a52
	s_waitcnt vmcnt(3)
	v_mul_f16_sdwa v51, v44, v10 dst_sel:DWORD dst_unused:UNUSED_PAD src0_sel:DWORD src1_sel:WORD_1
	v_mul_f16_sdwa v52, v43, v10 dst_sel:DWORD dst_unused:UNUSED_PAD src0_sel:DWORD src1_sel:WORD_1
	;; [unrolled: 1-line block ×8, first 2 shown]
	s_waitcnt vmcnt(2)
	v_mul_f16_sdwa v59, v49, v20 dst_sel:DWORD dst_unused:UNUSED_PAD src0_sel:DWORD src1_sel:WORD_1
	v_mul_f16_sdwa v60, v42, v20 dst_sel:DWORD dst_unused:UNUSED_PAD src0_sel:DWORD src1_sel:WORD_1
	;; [unrolled: 1-line block ×4, first 2 shown]
	s_waitcnt vmcnt(1)
	v_mul_f16_sdwa v63, v35, v16 dst_sel:DWORD dst_unused:UNUSED_PAD src0_sel:DWORD src1_sel:WORD_1
	v_mul_f16_sdwa v64, v37, v16 dst_sel:DWORD dst_unused:UNUSED_PAD src0_sel:DWORD src1_sel:WORD_1
	;; [unrolled: 1-line block ×7, first 2 shown]
	s_waitcnt vmcnt(0)
	v_mul_f16_sdwa v71, v48, v22 dst_sel:DWORD dst_unused:UNUSED_PAD src0_sel:DWORD src1_sel:WORD_1
	v_fma_f16 v43, v43, v10, v51
	v_fma_f16 v10, v44, v10, -v52
	v_fma_f16 v41, v41, v11, v53
	v_fma_f16 v11, v30, v11, -v54
	;; [unrolled: 2-line block ×6, first 2 shown]
	v_mul_f16_sdwa v70, v38, v19 dst_sel:DWORD dst_unused:UNUSED_PAD src0_sel:DWORD src1_sel:WORD_1
	v_mul_f16_sdwa v72, v36, v22 dst_sel:DWORD dst_unused:UNUSED_PAD src0_sel:DWORD src1_sel:WORD_1
	v_fma_f16 v37, v37, v16, v63
	v_fma_f16 v16, v35, v16, -v64
	v_fma_f16 v34, v34, v17, v65
	v_fma_f16 v17, v29, v17, -v66
	;; [unrolled: 2-line block ×3, first 2 shown]
	v_fma_f16 v27, v38, v19, v69
	v_fma_f16 v31, v36, v22, v71
	v_add_f16_e32 v35, v43, v33
	v_add_f16_e32 v36, v10, v21
	v_sub_f16_e32 v10, v10, v21
	v_add_f16_e32 v21, v41, v26
	v_add_f16_e32 v38, v11, v20
	v_mul_f16_sdwa v73, v46, v23 dst_sel:DWORD dst_unused:UNUSED_PAD src0_sel:DWORD src1_sel:WORD_1
	v_mul_f16_sdwa v74, v32, v23 dst_sel:DWORD dst_unused:UNUSED_PAD src0_sel:DWORD src1_sel:WORD_1
	v_sub_f16_e32 v33, v43, v33
	v_sub_f16_e32 v26, v41, v26
	v_sub_f16_e32 v11, v11, v20
	v_add_f16_e32 v20, v30, v28
	v_add_f16_e32 v39, v12, v13
	v_sub_f16_e32 v28, v28, v30
	v_sub_f16_e32 v12, v13, v12
	v_add_f16_e32 v13, v21, v35
	v_add_f16_e32 v30, v38, v36
	v_fma_f16 v32, v32, v23, v73
	v_fma_f16 v23, v46, v23, -v74
	v_sub_f16_e32 v40, v21, v35
	v_sub_f16_e32 v41, v38, v36
	;; [unrolled: 1-line block ×6, first 2 shown]
	v_add_f16_e32 v42, v28, v26
	v_add_f16_e32 v43, v12, v11
	v_sub_f16_e32 v44, v28, v26
	v_sub_f16_e32 v46, v12, v11
	;; [unrolled: 1-line block ×4, first 2 shown]
	v_add_f16_e32 v13, v20, v13
	v_add_f16_e32 v20, v39, v30
	v_sub_f16_e32 v28, v33, v28
	v_sub_f16_e32 v12, v10, v12
	v_add_f16_e32 v30, v42, v33
	v_add_f16_e32 v10, v43, v10
	;; [unrolled: 1-line block ×4, first 2 shown]
	v_mul_f16_e32 v14, 0x3a52, v35
	v_mul_f16_e32 v35, 0x3a52, v36
	v_mul_f16_e32 v36, 0x2b26, v21
	v_mul_f16_e32 v39, 0x2b26, v38
	v_mul_f16_e32 v42, 0x3846, v44
	v_mul_f16_e32 v43, 0x3846, v46
	v_mul_f16_e32 v44, 0xbb00, v26
	v_mul_f16_e32 v46, 0xbb00, v11
	v_fma_f16 v13, v13, s8, v15
	v_fma_f16 v20, v20, s8, v33
	;; [unrolled: 1-line block ×4, first 2 shown]
	v_fma_f16 v36, v40, s1, -v36
	v_fma_f16 v39, v41, s1, -v39
	;; [unrolled: 1-line block ×4, first 2 shown]
	v_fma_f16 v40, v28, s9, v42
	v_fma_f16 v41, v12, s9, v43
	v_fma_f16 v11, v11, s0, -v43
	v_fma_f16 v28, v28, s3, -v44
	;; [unrolled: 1-line block ×4, first 2 shown]
	v_add_f16_e32 v21, v21, v13
	v_add_f16_e32 v36, v36, v13
	;; [unrolled: 1-line block ×4, first 2 shown]
	v_fma_f16 v35, v10, s6, v41
	v_fma_f16 v11, v10, s6, v11
	;; [unrolled: 1-line block ×4, first 2 shown]
	v_fma_f16 v19, v50, v19, -v70
	v_fma_f16 v26, v26, s0, -v42
	v_add_f16_e32 v38, v38, v20
	v_add_f16_e32 v39, v39, v20
	v_fma_f16 v20, v30, s6, v40
	v_add_f16_e32 v12, v35, v21
	v_add_f16_e32 v40, v10, v13
	v_sub_f16_e32 v41, v14, v28
	v_sub_f16_e32 v10, v13, v10
	v_add_f16_e32 v28, v28, v14
	v_sub_f16_e32 v13, v21, v35
	v_add_f16_e32 v14, v37, v32
	v_add_f16_e32 v21, v16, v23
	v_sub_f16_e32 v16, v16, v23
	v_add_f16_e32 v23, v34, v31
	v_add_f16_e32 v35, v17, v22
	v_fma_f16 v26, v30, s6, v26
	v_sub_f16_e32 v32, v37, v32
	v_sub_f16_e32 v31, v34, v31
	;; [unrolled: 1-line block ×3, first 2 shown]
	v_add_f16_e32 v22, v29, v27
	v_add_f16_e32 v34, v18, v19
	v_sub_f16_e32 v27, v27, v29
	v_sub_f16_e32 v18, v19, v18
	v_add_f16_e32 v19, v23, v14
	v_add_f16_e32 v29, v35, v21
	v_sub_f16_e32 v30, v38, v20
	v_sub_f16_e32 v42, v36, v11
	v_add_f16_e32 v43, v26, v39
	v_add_f16_e32 v11, v11, v36
	v_sub_f16_e32 v26, v39, v26
	v_add_f16_e32 v20, v20, v38
	v_sub_f16_e32 v36, v23, v14
	v_sub_f16_e32 v37, v35, v21
	;; [unrolled: 1-line block ×5, first 2 shown]
	v_add_f16_e32 v38, v27, v31
	v_add_f16_e32 v39, v18, v17
	v_sub_f16_e32 v44, v27, v31
	v_sub_f16_e32 v31, v31, v32
	v_add_f16_e32 v19, v22, v19
	v_add_f16_e32 v22, v34, v29
	v_sub_f16_e32 v35, v34, v35
	v_sub_f16_e32 v46, v18, v17
	;; [unrolled: 1-line block ×5, first 2 shown]
	v_add_f16_e32 v29, v38, v32
	v_add_f16_e32 v16, v39, v16
	;; [unrolled: 1-line block ×4, first 2 shown]
	v_mul_f16_e32 v14, 0x3a52, v14
	v_mul_f16_e32 v21, 0x3a52, v21
	v_mul_f16_e32 v34, 0x2b26, v23
	v_mul_f16_e32 v39, 0x3846, v44
	v_mul_f16_e32 v45, 0xbb00, v31
	v_mul_f16_e32 v38, 0x2b26, v35
	v_mul_f16_e32 v44, 0x3846, v46
	v_fma_f16 v19, v19, s8, v9
	v_fma_f16 v22, v22, s8, v32
	;; [unrolled: 1-line block ×4, first 2 shown]
	v_fma_f16 v34, v36, s1, -v34
	v_fma_f16 v14, v36, s2, -v14
	;; [unrolled: 1-line block ×3, first 2 shown]
	v_fma_f16 v36, v27, s9, v39
	v_fma_f16 v27, v27, s3, -v45
	v_mul_f16_e32 v46, 0xbb00, v17
	v_fma_f16 v38, v37, s1, -v38
	v_fma_f16 v37, v18, s9, v44
	v_add_f16_e32 v23, v23, v19
	v_add_f16_e32 v34, v34, v19
	;; [unrolled: 1-line block ×4, first 2 shown]
	v_fma_f16 v27, v29, s6, v27
	v_fma_f16 v17, v17, s0, -v44
	v_fma_f16 v18, v18, s3, -v46
	v_add_f16_e32 v35, v35, v22
	v_add_f16_e32 v38, v38, v22
	v_fma_f16 v22, v16, s6, v37
	v_sub_f16_e32 v37, v19, v27
	v_add_f16_e32 v27, v27, v19
	s_movk_i32 s10, 0x134
	v_mov_b32_e32 v19, 1
	v_fma_f16 v17, v16, s6, v17
	v_fma_f16 v16, v16, s6, v18
	v_mad_u32_u24 v7, v7, s10, 0
	v_lshlrev_b32_sdwa v8, v19, v8 dst_sel:DWORD dst_unused:UNUSED_PAD src0_sel:DWORD src1_sel:BYTE_0
	v_fma_f16 v21, v29, s6, v36
	v_add_f16_e32 v18, v22, v23
	v_add_f16_e32 v36, v16, v14
	v_sub_f16_e32 v14, v14, v16
	v_sub_f16_e32 v16, v23, v22
	v_add3_u32 v22, v7, v8, v6
	v_mad_u32_u24 v7, v24, s10, 0
	v_lshlrev_b32_sdwa v8, v19, v25 dst_sel:DWORD dst_unused:UNUSED_PAD src0_sel:DWORD src1_sel:BYTE_0
	v_fma_f16 v31, v31, s0, -v39
	v_sub_f16_e32 v39, v34, v17
	v_add_f16_e32 v17, v17, v34
	v_add3_u32 v23, v7, v8, v6
	ds_write_b16 v22, v15
	ds_write_b16 v22, v12 offset:44
	ds_write_b16 v22, v40 offset:88
	;; [unrolled: 1-line block ×6, first 2 shown]
	ds_write_b16 v23, v9
	ds_write_b16 v23, v18 offset:44
	ds_write_b16 v23, v36 offset:88
	;; [unrolled: 1-line block ×6, first 2 shown]
	s_waitcnt lgkmcnt(0)
	s_barrier
	ds_read_u16 v6, v1
	ds_read_u16 v7, v5 offset:1232
	ds_read_u16 v15, v5 offset:1078
	ds_read_u16 v9, v5 offset:924
	ds_read_u16 v14, v5 offset:770
	ds_read_u16 v8, v5 offset:616
	ds_read_u16 v16, v5 offset:462
	ds_read_u16 v11, v5 offset:308
	ds_read_u16 v13, v5 offset:154
	ds_read_u16 v18, v5 offset:2002
	ds_read_u16 v12, v5 offset:1848
	ds_read_u16 v17, v5 offset:1694
	ds_read_u16 v10, v5 offset:1540
	ds_read_u16 v19, v5 offset:1386
	v_fma_f16 v31, v29, s6, v31
	v_sub_f16_e32 v29, v35, v21
	v_add_f16_e32 v44, v31, v38
	v_sub_f16_e32 v31, v38, v31
	v_add_f16_e32 v21, v21, v35
	s_waitcnt lgkmcnt(0)
	s_barrier
	ds_write_b16 v22, v33
	ds_write_b16 v22, v30 offset:44
	ds_write_b16 v22, v41 offset:88
	;; [unrolled: 1-line block ×6, first 2 shown]
	ds_write_b16 v23, v32
	ds_write_b16 v23, v29 offset:44
	ds_write_b16 v23, v37 offset:88
	;; [unrolled: 1-line block ×6, first 2 shown]
	s_waitcnt lgkmcnt(0)
	s_barrier
	s_and_saveexec_b64 s[10:11], vcc
	s_cbranch_execz .LBB0_20
; %bb.19:
	v_mul_u32_u24_e32 v20, 6, v4
	v_lshlrev_b32_e32 v24, 2, v20
	global_load_dwordx4 v[20:23], v24, s[4:5] offset:608
	global_load_dwordx2 v[28:29], v24, s[4:5] offset:624
	v_mul_u32_u24_e32 v24, 6, v0
	v_lshlrev_b32_e32 v44, 2, v24
	ds_read_u16 v32, v5 offset:1078
	ds_read_u16 v33, v5 offset:924
	ds_read_u16 v34, v5 offset:770
	ds_read_u16 v35, v5 offset:616
	ds_read_u16 v36, v5 offset:462
	ds_read_u16 v37, v5 offset:308
	ds_read_u16 v38, v5 offset:2002
	ds_read_u16 v39, v5 offset:1848
	ds_read_u16 v40, v5 offset:1694
	ds_read_u16 v41, v5 offset:1540
	ds_read_u16 v42, v5 offset:1386
	ds_read_u16 v43, v5 offset:1232
	ds_read_u16 v5, v5 offset:154
	ds_read_u16 v1, v1
	global_load_dwordx4 v[24:27], v44, s[4:5] offset:608
	global_load_dwordx2 v[30:31], v44, s[4:5] offset:624
	s_waitcnt vmcnt(3)
	v_lshrrev_b32_e32 v44, 16, v20
	v_lshrrev_b32_e32 v45, 16, v21
	v_lshrrev_b32_e32 v46, 16, v22
	v_lshrrev_b32_e32 v47, 16, v23
	v_mul_f16_e32 v48, v16, v20
	s_waitcnt vmcnt(2)
	v_lshrrev_b32_e32 v49, 16, v28
	v_lshrrev_b32_e32 v50, 16, v29
	v_mul_f16_e32 v51, v18, v29
	v_mul_f16_e32 v54, v14, v21
	;; [unrolled: 1-line block ×5, first 2 shown]
	s_waitcnt lgkmcnt(9)
	v_fma_f16 v48, v36, v44, v48
	s_waitcnt lgkmcnt(7)
	v_fma_f16 v51, v38, v50, v51
	v_fma_f16 v54, v34, v45, v54
	s_waitcnt lgkmcnt(5)
	v_fma_f16 v55, v40, v49, v55
	v_mul_f16_e32 v18, v18, v50
	v_mul_f16_e32 v16, v16, v44
	;; [unrolled: 1-line block ×6, first 2 shown]
	s_waitcnt lgkmcnt(3)
	v_fma_f16 v52, v42, v47, v52
	v_fma_f16 v53, v32, v46, v53
	v_fma_f16 v18, v38, v29, -v18
	v_fma_f16 v16, v36, v20, -v16
	v_fma_f16 v15, v32, v22, -v15
	v_fma_f16 v19, v42, v23, -v19
	v_fma_f16 v17, v40, v28, -v17
	v_fma_f16 v14, v34, v21, -v14
	v_add_f16_e32 v20, v48, v51
	v_add_f16_e32 v22, v54, v55
	v_sub_f16_e32 v44, v48, v51
	v_sub_f16_e32 v45, v52, v53
	;; [unrolled: 1-line block ×3, first 2 shown]
	v_add_f16_e32 v21, v52, v53
	v_add_f16_e32 v32, v16, v18
	;; [unrolled: 1-line block ×5, first 2 shown]
	v_sub_f16_e32 v16, v16, v18
	v_sub_f16_e32 v15, v19, v15
	;; [unrolled: 1-line block ×5, first 2 shown]
	v_add_f16_e32 v29, v45, v46
	v_sub_f16_e32 v38, v20, v21
	v_sub_f16_e32 v40, v21, v22
	v_add_f16_e32 v45, v32, v36
	v_add_f16_e32 v21, v21, v42
	v_sub_f16_e32 v42, v16, v15
	v_sub_f16_e32 v17, v15, v14
	v_add_f16_e32 v15, v15, v14
	v_sub_f16_e32 v14, v14, v16
	v_mul_f16_e32 v18, 0x3846, v28
	v_add_f16_e32 v19, v44, v29
	v_sub_f16_e32 v28, v32, v34
	v_sub_f16_e32 v29, v34, v36
	v_add_f16_e32 v34, v34, v45
	v_mul_f16_e32 v17, 0x3846, v17
	v_add_f16_e32 v15, v16, v15
	v_sub_f16_e32 v44, v46, v44
	v_mul_f16_e32 v16, 0xbb00, v14
	v_mul_f16_e32 v47, 0x3a52, v38
	;; [unrolled: 1-line block ×4, first 2 shown]
	v_add_f16_e32 v13, v13, v21
	s_waitcnt lgkmcnt(1)
	v_add_f16_e32 v5, v5, v34
	v_fma_f16 v50, v42, s9, v17
	v_mul_f16_e32 v46, 0xbb00, v44
	v_sub_f16_e32 v32, v36, v32
	v_sub_f16_e32 v20, v22, v20
	v_fma_f16 v16, v42, s3, -v16
	v_fma_f16 v14, v14, s0, -v17
	v_fma_f16 v48, v23, s9, v18
	v_mul_f16_e32 v29, 0x2b26, v29
	v_fma_f16 v21, v21, s8, v13
	v_fma_f16 v34, v34, s8, v5
	;; [unrolled: 1-line block ×3, first 2 shown]
	v_fma_f16 v23, v23, s3, -v46
	v_fma_f16 v36, v32, s2, -v49
	;; [unrolled: 1-line block ×3, first 2 shown]
	v_fma_f16 v16, v15, s6, v16
	v_fma_f16 v14, v15, s6, v14
	v_fma_f16 v15, v20, s1, -v40
	v_fma_f16 v38, v38, s7, v40
	v_fma_f16 v28, v28, s7, v29
	;; [unrolled: 1-line block ×3, first 2 shown]
	v_add_f16_e32 v36, v36, v34
	v_add_f16_e32 v22, v22, v21
	v_fma_f16 v29, v32, s1, -v29
	v_fma_f16 v18, v44, s0, -v18
	v_add_f16_e32 v15, v15, v21
	v_fma_f16 v45, v19, s6, v48
	v_add_f16_e32 v38, v38, v21
	v_add_f16_e32 v28, v28, v34
	v_add_f16_e32 v46, v23, v36
	v_sub_f16_e32 v42, v22, v16
	v_add_f16_e32 v29, v29, v34
	v_fma_f16 v18, v19, s6, v18
	v_add_f16_e32 v17, v14, v15
	v_sub_f16_e32 v14, v15, v14
	v_sub_f16_e32 v15, v36, v23
	v_add_f16_e32 v16, v16, v22
	s_waitcnt vmcnt(1)
	v_lshrrev_b32_e32 v22, 16, v24
	v_lshrrev_b32_e32 v23, 16, v25
	s_waitcnt vmcnt(0)
	v_lshrrev_b32_e32 v34, 16, v30
	v_lshrrev_b32_e32 v36, 16, v31
	v_add_f16_e32 v48, v45, v28
	v_sub_f16_e32 v51, v38, v50
	v_sub_f16_e32 v19, v29, v18
	v_add_f16_e32 v18, v18, v29
	v_sub_f16_e32 v20, v28, v45
	v_add_f16_e32 v21, v50, v38
	v_lshrrev_b32_e32 v28, 16, v26
	v_lshrrev_b32_e32 v29, 16, v27
	v_mul_f16_e32 v32, v11, v24
	v_mul_f16_e32 v38, v12, v31
	v_mul_f16_e32 v50, v8, v25
	v_mul_f16_e32 v52, v10, v30
	v_mul_f16_e32 v12, v12, v36
	v_mul_f16_e32 v11, v11, v22
	v_mul_f16_e32 v10, v10, v34
	v_mul_f16_e32 v8, v8, v23
	v_mul_f16_e32 v44, v7, v27
	v_mul_f16_e32 v45, v9, v26
	v_fma_f16 v12, v39, v31, -v12
	v_fma_f16 v11, v37, v24, -v11
	v_mul_f16_e32 v9, v9, v28
	v_mul_f16_e32 v7, v7, v29
	v_fma_f16 v10, v41, v30, -v10
	v_fma_f16 v8, v35, v25, -v8
	v_fma_f16 v32, v37, v22, v32
	v_fma_f16 v50, v35, v23, v50
	v_add_f16_e32 v22, v11, v12
	v_fma_f16 v9, v33, v26, -v9
	v_fma_f16 v7, v43, v27, -v7
	v_add_f16_e32 v23, v8, v10
	v_fma_f16 v38, v39, v36, v38
	v_fma_f16 v44, v43, v29, v44
	;; [unrolled: 1-line block ×4, first 2 shown]
	v_add_f16_e32 v24, v7, v9
	v_add_f16_e32 v28, v22, v23
	v_sub_f16_e32 v47, v44, v45
	v_sub_f16_e32 v53, v50, v52
	;; [unrolled: 1-line block ×4, first 2 shown]
	v_add_f16_e32 v24, v24, v28
	v_add_f16_e32 v29, v32, v38
	;; [unrolled: 1-line block ×3, first 2 shown]
	v_sub_f16_e32 v11, v11, v12
	v_sub_f16_e32 v7, v7, v9
	;; [unrolled: 1-line block ×5, first 2 shown]
	v_mul_f16_e32 v27, 0x3a52, v26
	v_mul_f16_e32 v25, 0x2b26, v25
	s_waitcnt lgkmcnt(0)
	v_add_f16_e32 v28, v1, v24
	v_add_f16_e32 v30, v44, v45
	;; [unrolled: 1-line block ×3, first 2 shown]
	v_sub_f16_e32 v9, v11, v7
	v_sub_f16_e32 v10, v7, v8
	v_add_f16_e32 v7, v7, v8
	v_sub_f16_e32 v22, v23, v22
	v_sub_f16_e32 v8, v8, v11
	v_sub_f16_e32 v49, v40, v47
	v_mul_f16_e32 v54, 0x3846, v54
	v_add_f16_e32 v47, v47, v53
	v_fma_f16 v26, v26, s7, v25
	v_fma_f16 v1, v24, s8, v28
	v_sub_f16_e32 v31, v29, v30
	v_sub_f16_e32 v34, v30, v33
	v_add_f16_e32 v30, v30, v35
	v_mul_f16_e32 v10, 0x3846, v10
	v_add_f16_e32 v7, v11, v7
	v_sub_f16_e32 v36, v53, v40
	v_fma_f16 v23, v22, s2, -v27
	v_mul_f16_e32 v11, 0xbb00, v8
	v_fma_f16 v22, v22, s1, -v25
	v_add_f16_e32 v47, v40, v47
	v_add_f16_e32 v24, v26, v1
	v_mul_f16_e32 v34, 0x2b26, v34
	v_add_f16_e32 v6, v6, v30
	v_fma_f16 v12, v9, s9, v10
	v_mul_f16_e32 v37, 0xbb00, v36
	v_add_f16_e32 v23, v23, v1
	v_sub_f16_e32 v29, v33, v29
	v_fma_f16 v9, v9, s3, -v11
	v_add_f16_e32 v1, v22, v1
	v_fma_f16 v22, v36, s0, -v54
	v_fma_f16 v8, v8, s0, -v10
	v_fma_f16 v55, v49, s9, v54
	v_mul_f16_e32 v32, 0x3a52, v31
	v_fma_f16 v31, v31, s7, v34
	v_fma_f16 v30, v30, s8, v6
	;; [unrolled: 1-line block ×3, first 2 shown]
	v_fma_f16 v37, v49, s3, -v37
	v_fma_f16 v9, v7, s6, v9
	v_fma_f16 v22, v47, s6, v22
	;; [unrolled: 1-line block ×3, first 2 shown]
	v_fma_f16 v8, v29, s1, -v34
	v_fma_f16 v55, v47, s6, v55
	v_add_f16_e32 v31, v31, v30
	v_fma_f16 v37, v47, s6, v37
	v_fma_f16 v32, v29, s2, -v32
	v_sub_f16_e32 v25, v1, v22
	v_add_f16_e32 v8, v8, v30
	v_add_f16_e32 v22, v22, v1
	v_mov_b32_e32 v1, 0
	v_sub_f16_e32 v35, v31, v12
	v_add_f16_e32 v27, v37, v23
	v_add_f16_e32 v32, v32, v30
	;; [unrolled: 1-line block ×3, first 2 shown]
	v_sub_f16_e32 v7, v8, v7
	v_sub_f16_e32 v8, v23, v37
	;; [unrolled: 1-line block ×3, first 2 shown]
	v_add_f16_e32 v12, v12, v31
	v_lshl_add_u64 v[2:3], v[0:1], 2, v[2:3]
	v_pack_b32_f16 v0, v6, v28
	v_sub_f16_e32 v11, v32, v9
	v_add_f16_e32 v9, v9, v32
	global_store_dword v[2:3], v0, off
	v_pack_b32_f16 v0, v12, v23
	global_store_dword v[2:3], v0, off offset:616
	v_pack_b32_f16 v0, v9, v8
	global_store_dword v[2:3], v0, off offset:1232
	;; [unrolled: 2-line block ×3, first 2 shown]
	v_pack_b32_f16 v0, v10, v25
	v_add_f16_e32 v26, v55, v24
	global_store_dword v[2:3], v0, off offset:2464
	v_pack_b32_f16 v0, v11, v27
	global_store_dword v[2:3], v0, off offset:3080
	v_pack_b32_f16 v0, v35, v26
	s_mov_b32 s0, 0x3531dec1
	global_store_dword v[2:3], v0, off offset:3696
	v_mul_hi_u32 v0, v4, s0
	v_lshrrev_b32_e32 v0, 5, v0
	v_mul_u32_u24_e32 v0, 0x39c, v0
	v_lshl_add_u64 v[0:1], v[0:1], 2, v[2:3]
	v_pack_b32_f16 v2, v13, v5
	global_store_dword v[0:1], v2, off offset:308
	v_pack_b32_f16 v2, v21, v20
	global_store_dword v[0:1], v2, off offset:924
	;; [unrolled: 2-line block ×7, first 2 shown]
.LBB0_20:
	s_endpgm
	.section	.rodata,"a",@progbits
	.p2align	6, 0x0
	.amdhsa_kernel fft_rtc_back_len1078_factors_2_11_7_7_wgs_231_tpt_77_halfLds_half_ip_CI_unitstride_sbrr_dirReg
		.amdhsa_group_segment_fixed_size 0
		.amdhsa_private_segment_fixed_size 0
		.amdhsa_kernarg_size 88
		.amdhsa_user_sgpr_count 2
		.amdhsa_user_sgpr_dispatch_ptr 0
		.amdhsa_user_sgpr_queue_ptr 0
		.amdhsa_user_sgpr_kernarg_segment_ptr 1
		.amdhsa_user_sgpr_dispatch_id 0
		.amdhsa_user_sgpr_kernarg_preload_length 0
		.amdhsa_user_sgpr_kernarg_preload_offset 0
		.amdhsa_user_sgpr_private_segment_size 0
		.amdhsa_uses_dynamic_stack 0
		.amdhsa_enable_private_segment 0
		.amdhsa_system_sgpr_workgroup_id_x 1
		.amdhsa_system_sgpr_workgroup_id_y 0
		.amdhsa_system_sgpr_workgroup_id_z 0
		.amdhsa_system_sgpr_workgroup_info 0
		.amdhsa_system_vgpr_workitem_id 0
		.amdhsa_next_free_vgpr 88
		.amdhsa_next_free_sgpr 22
		.amdhsa_accum_offset 88
		.amdhsa_reserve_vcc 1
		.amdhsa_float_round_mode_32 0
		.amdhsa_float_round_mode_16_64 0
		.amdhsa_float_denorm_mode_32 3
		.amdhsa_float_denorm_mode_16_64 3
		.amdhsa_dx10_clamp 1
		.amdhsa_ieee_mode 1
		.amdhsa_fp16_overflow 0
		.amdhsa_tg_split 0
		.amdhsa_exception_fp_ieee_invalid_op 0
		.amdhsa_exception_fp_denorm_src 0
		.amdhsa_exception_fp_ieee_div_zero 0
		.amdhsa_exception_fp_ieee_overflow 0
		.amdhsa_exception_fp_ieee_underflow 0
		.amdhsa_exception_fp_ieee_inexact 0
		.amdhsa_exception_int_div_zero 0
	.end_amdhsa_kernel
	.text
.Lfunc_end0:
	.size	fft_rtc_back_len1078_factors_2_11_7_7_wgs_231_tpt_77_halfLds_half_ip_CI_unitstride_sbrr_dirReg, .Lfunc_end0-fft_rtc_back_len1078_factors_2_11_7_7_wgs_231_tpt_77_halfLds_half_ip_CI_unitstride_sbrr_dirReg
                                        ; -- End function
	.section	.AMDGPU.csdata,"",@progbits
; Kernel info:
; codeLenInByte = 10988
; NumSgprs: 28
; NumVgprs: 88
; NumAgprs: 0
; TotalNumVgprs: 88
; ScratchSize: 0
; MemoryBound: 0
; FloatMode: 240
; IeeeMode: 1
; LDSByteSize: 0 bytes/workgroup (compile time only)
; SGPRBlocks: 3
; VGPRBlocks: 10
; NumSGPRsForWavesPerEU: 28
; NumVGPRsForWavesPerEU: 88
; AccumOffset: 88
; Occupancy: 5
; WaveLimiterHint : 1
; COMPUTE_PGM_RSRC2:SCRATCH_EN: 0
; COMPUTE_PGM_RSRC2:USER_SGPR: 2
; COMPUTE_PGM_RSRC2:TRAP_HANDLER: 0
; COMPUTE_PGM_RSRC2:TGID_X_EN: 1
; COMPUTE_PGM_RSRC2:TGID_Y_EN: 0
; COMPUTE_PGM_RSRC2:TGID_Z_EN: 0
; COMPUTE_PGM_RSRC2:TIDIG_COMP_CNT: 0
; COMPUTE_PGM_RSRC3_GFX90A:ACCUM_OFFSET: 21
; COMPUTE_PGM_RSRC3_GFX90A:TG_SPLIT: 0
	.text
	.p2alignl 6, 3212836864
	.fill 256, 4, 3212836864
	.type	__hip_cuid_ca16e52b8f7217aa,@object ; @__hip_cuid_ca16e52b8f7217aa
	.section	.bss,"aw",@nobits
	.globl	__hip_cuid_ca16e52b8f7217aa
__hip_cuid_ca16e52b8f7217aa:
	.byte	0                               ; 0x0
	.size	__hip_cuid_ca16e52b8f7217aa, 1

	.ident	"AMD clang version 19.0.0git (https://github.com/RadeonOpenCompute/llvm-project roc-6.4.0 25133 c7fe45cf4b819c5991fe208aaa96edf142730f1d)"
	.section	".note.GNU-stack","",@progbits
	.addrsig
	.addrsig_sym __hip_cuid_ca16e52b8f7217aa
	.amdgpu_metadata
---
amdhsa.kernels:
  - .agpr_count:     0
    .args:
      - .actual_access:  read_only
        .address_space:  global
        .offset:         0
        .size:           8
        .value_kind:     global_buffer
      - .offset:         8
        .size:           8
        .value_kind:     by_value
      - .actual_access:  read_only
        .address_space:  global
        .offset:         16
        .size:           8
        .value_kind:     global_buffer
      - .actual_access:  read_only
        .address_space:  global
        .offset:         24
        .size:           8
        .value_kind:     global_buffer
      - .offset:         32
        .size:           8
        .value_kind:     by_value
      - .actual_access:  read_only
        .address_space:  global
        .offset:         40
        .size:           8
        .value_kind:     global_buffer
      - .actual_access:  read_only
        .address_space:  global
        .offset:         48
        .size:           8
        .value_kind:     global_buffer
      - .offset:         56
        .size:           4
        .value_kind:     by_value
      - .actual_access:  read_only
        .address_space:  global
        .offset:         64
        .size:           8
        .value_kind:     global_buffer
      - .actual_access:  read_only
        .address_space:  global
        .offset:         72
        .size:           8
        .value_kind:     global_buffer
      - .address_space:  global
        .offset:         80
        .size:           8
        .value_kind:     global_buffer
    .group_segment_fixed_size: 0
    .kernarg_segment_align: 8
    .kernarg_segment_size: 88
    .language:       OpenCL C
    .language_version:
      - 2
      - 0
    .max_flat_workgroup_size: 231
    .name:           fft_rtc_back_len1078_factors_2_11_7_7_wgs_231_tpt_77_halfLds_half_ip_CI_unitstride_sbrr_dirReg
    .private_segment_fixed_size: 0
    .sgpr_count:     28
    .sgpr_spill_count: 0
    .symbol:         fft_rtc_back_len1078_factors_2_11_7_7_wgs_231_tpt_77_halfLds_half_ip_CI_unitstride_sbrr_dirReg.kd
    .uniform_work_group_size: 1
    .uses_dynamic_stack: false
    .vgpr_count:     88
    .vgpr_spill_count: 0
    .wavefront_size: 64
amdhsa.target:   amdgcn-amd-amdhsa--gfx950
amdhsa.version:
  - 1
  - 2
...

	.end_amdgpu_metadata
